;; amdgpu-corpus repo=ROCm/rocSOLVER kind=compiled arch=gfx90a opt=O3
	.text
	.amdgcn_target "amdgcn-amd-amdhsa--gfx90a"
	.amdhsa_code_object_version 6
	.section	.text._ZN9rocsolver6v33100L16rf_gather_kernelIfEEviiPKiPT_iS5_,"axG",@progbits,_ZN9rocsolver6v33100L16rf_gather_kernelIfEEviiPKiPT_iS5_,comdat
	.globl	_ZN9rocsolver6v33100L16rf_gather_kernelIfEEviiPKiPT_iS5_ ; -- Begin function _ZN9rocsolver6v33100L16rf_gather_kernelIfEEviiPKiPT_iS5_
	.p2align	8
	.type	_ZN9rocsolver6v33100L16rf_gather_kernelIfEEviiPKiPT_iS5_,@function
_ZN9rocsolver6v33100L16rf_gather_kernelIfEEviiPKiPT_iS5_: ; @_ZN9rocsolver6v33100L16rf_gather_kernelIfEEviiPKiPT_iS5_
; %bb.0:
	s_load_dwordx2 s[16:17], s[4:5], 0x0
	s_load_dwordx4 s[8:11], s[4:5], 0x8
	s_load_dword s14, s[4:5], 0x18
	s_load_dwordx2 s[12:13], s[4:5], 0x20
	v_mov_b32_e32 v3, 0
	v_mov_b32_e32 v1, v3
	s_waitcnt lgkmcnt(0)
	s_ashr_i32 s7, s16, 31
	s_mov_b32 s6, s16
	v_cmp_gt_u32_e32 vcc, s16, v0
	s_and_saveexec_b64 s[18:19], vcc
	s_cbranch_execz .LBB0_6
; %bb.1:
	s_load_dword s0, s[4:5], 0x34
	s_ashr_i32 s21, s17, 31
	s_cmp_eq_u32 s17, 0
	v_lshlrev_b32_e32 v2, 2, v0
	s_mov_b32 s2, 0
	s_cselect_b64 s[22:23], -1, 0
	s_ashr_i32 s15, s14, 31
	s_waitcnt lgkmcnt(0)
	s_and_b32 s16, s0, 0xffff
	v_mov_b32_e32 v5, s13
	v_add_co_u32_e64 v4, s[0:1], s12, v2
	s_mov_b32 s20, s17
	v_addc_co_u32_e64 v5, s[0:1], 0, v5, s[0:1]
	s_lshl_b32 s33, s16, 2
	s_lshl_b64 s[24:25], s[6:7], 2
	s_lshl_b64 s[26:27], s[14:15], 2
	s_mov_b64 s[28:29], 0
	v_mov_b32_e32 v12, s9
	v_mov_b32_e32 v13, s2
	;; [unrolled: 1-line block ×3, first 2 shown]
	v_pk_mov_b32 v[6:7], v[0:1], v[0:1] op_sel:[0,1]
	s_branch .LBB0_3
.LBB0_2:                                ;   in Loop: Header=BB0_3 Depth=1
	s_or_b64 exec, exec, s[2:3]
	v_add_co_u32_e64 v6, s[0:1], s16, v6
	v_addc_co_u32_e64 v7, s[0:1], v7, v13, s[0:1]
	v_cmp_le_u64_e64 s[0:1], s[6:7], v[6:7]
	s_or_b64 s[28:29], s[0:1], s[28:29]
	v_add_co_u32_e64 v4, s[0:1], s33, v4
	v_addc_co_u32_e64 v5, s[0:1], v5, v14, s[0:1]
	s_andn2_b64 exec, exec, s[28:29]
	s_cbranch_execz .LBB0_6
.LBB0_3:                                ; =>This Loop Header: Depth=1
                                        ;     Child Loop BB0_5 Depth 2
	v_lshlrev_b64 v[8:9], 2, v[6:7]
	v_add_co_u32_e64 v8, s[0:1], s8, v8
	v_addc_co_u32_e64 v9, s[0:1], v12, v9, s[0:1]
	global_load_dword v2, v[8:9], off
	s_waitcnt vmcnt(0)
	v_cmp_gt_i32_e64 s[0:1], 0, v2
	v_cmp_le_i32_e64 s[2:3], s6, v2
	s_or_b64 s[0:1], s[0:1], s[2:3]
	s_or_b64 s[0:1], s[0:1], s[22:23]
	s_xor_b64 s[0:1], s[0:1], -1
	s_and_saveexec_b64 s[2:3], s[0:1]
	s_cbranch_execz .LBB0_2
; %bb.4:                                ;   in Loop: Header=BB0_3 Depth=1
	v_lshlrev_b64 v[8:9], 2, v[2:3]
	v_mov_b32_e32 v2, s11
	v_add_co_u32_e64 v8, s[0:1], s10, v8
	v_addc_co_u32_e64 v9, s[0:1], v2, v9, s[0:1]
	v_pk_mov_b32 v[10:11], v[4:5], v[4:5] op_sel:[0,1]
	s_mov_b64 s[30:31], s[20:21]
.LBB0_5:                                ;   Parent Loop BB0_3 Depth=1
                                        ; =>  This Inner Loop Header: Depth=2
	global_load_dword v2, v[8:9], off
	v_mov_b32_e32 v16, s27
	v_add_co_u32_e64 v8, s[0:1], s26, v8
	s_add_u32 s30, s30, -1
	v_addc_co_u32_e64 v9, s[0:1], v9, v16, s[0:1]
	v_mov_b32_e32 v15, s25
	s_addc_u32 s31, s31, -1
	s_cmp_lg_u64 s[30:31], 0
	s_waitcnt vmcnt(0)
	global_store_dword v[10:11], v2, off
	v_add_co_u32_e64 v10, s[0:1], s24, v10
	v_addc_co_u32_e64 v11, s[0:1], v11, v15, s[0:1]
	s_cbranch_scc1 .LBB0_5
	s_branch .LBB0_2
.LBB0_6:
	s_or_b64 exec, exec, s[18:19]
	s_barrier
	s_and_saveexec_b64 s[0:1], vcc
	s_cbranch_execz .LBB0_11
; %bb.7:
	s_load_dword s4, s[4:5], 0x34
	s_ashr_i32 s3, s17, 31
	v_lshlrev_b32_e32 v4, 2, v0
	s_cmp_lg_u32 s17, 0
	v_mov_b32_e32 v3, s11
	v_add_co_u32_e32 v2, vcc, s10, v4
	s_cselect_b64 s[0:1], -1, 0
	v_addc_co_u32_e32 v3, vcc, 0, v3, vcc
	s_mov_b32 s18, 0
	s_ashr_i32 s15, s14, 31
	s_waitcnt lgkmcnt(0)
	s_and_b32 s16, s4, 0xffff
	v_mov_b32_e32 v5, s13
	v_add_co_u32_e32 v4, vcc, s12, v4
	v_cndmask_b32_e64 v6, 0, 1, s[0:1]
	s_mov_b32 s2, s17
	s_lshl_b32 s17, s16, 2
	s_lshl_b64 s[4:5], s[14:15], 2
	v_addc_co_u32_e32 v5, vcc, 0, v5, vcc
	s_lshl_b64 s[8:9], s[6:7], 2
	s_mov_b64 s[10:11], 0
	v_cmp_ne_u32_e64 s[0:1], 1, v6
	v_mov_b32_e32 v10, s18
	v_mov_b32_e32 v11, s18
	s_branch .LBB0_9
.LBB0_8:                                ;   in Loop: Header=BB0_9 Depth=1
	v_add_co_u32_e32 v0, vcc, s16, v0
	v_addc_co_u32_e32 v1, vcc, v1, v10, vcc
	v_add_co_u32_e32 v2, vcc, s17, v2
	v_addc_co_u32_e32 v3, vcc, v3, v11, vcc
	v_cmp_le_u64_e32 vcc, s[6:7], v[0:1]
	s_or_b64 s[10:11], vcc, s[10:11]
	v_add_co_u32_e32 v4, vcc, s17, v4
	v_addc_co_u32_e32 v5, vcc, v5, v11, vcc
	s_andn2_b64 exec, exec, s[10:11]
	s_cbranch_execz .LBB0_11
.LBB0_9:                                ; =>This Loop Header: Depth=1
                                        ;     Child Loop BB0_10 Depth 2
	s_and_b64 vcc, exec, s[0:1]
	v_pk_mov_b32 v[6:7], v[4:5], v[4:5] op_sel:[0,1]
	v_pk_mov_b32 v[8:9], v[2:3], v[2:3] op_sel:[0,1]
	s_mov_b64 s[12:13], s[2:3]
	s_cbranch_vccnz .LBB0_8
.LBB0_10:                               ;   Parent Loop BB0_9 Depth=1
                                        ; =>  This Inner Loop Header: Depth=2
	global_load_dword v12, v[6:7], off
	v_mov_b32_e32 v14, s9
	v_add_co_u32_e32 v6, vcc, s8, v6
	s_add_u32 s12, s12, -1
	v_addc_co_u32_e32 v7, vcc, v7, v14, vcc
	v_mov_b32_e32 v13, s5
	s_addc_u32 s13, s13, -1
	s_cmp_eq_u64 s[12:13], 0
	s_waitcnt vmcnt(0)
	global_store_dword v[8:9], v12, off
	v_add_co_u32_e32 v8, vcc, s4, v8
	v_addc_co_u32_e32 v9, vcc, v9, v13, vcc
	s_cbranch_scc0 .LBB0_10
	s_branch .LBB0_8
.LBB0_11:
	s_endpgm
	.section	.rodata,"a",@progbits
	.p2align	6, 0x0
	.amdhsa_kernel _ZN9rocsolver6v33100L16rf_gather_kernelIfEEviiPKiPT_iS5_
		.amdhsa_group_segment_fixed_size 0
		.amdhsa_private_segment_fixed_size 0
		.amdhsa_kernarg_size 296
		.amdhsa_user_sgpr_count 6
		.amdhsa_user_sgpr_private_segment_buffer 1
		.amdhsa_user_sgpr_dispatch_ptr 0
		.amdhsa_user_sgpr_queue_ptr 0
		.amdhsa_user_sgpr_kernarg_segment_ptr 1
		.amdhsa_user_sgpr_dispatch_id 0
		.amdhsa_user_sgpr_flat_scratch_init 0
		.amdhsa_user_sgpr_kernarg_preload_length 0
		.amdhsa_user_sgpr_kernarg_preload_offset 0
		.amdhsa_user_sgpr_private_segment_size 0
		.amdhsa_uses_dynamic_stack 0
		.amdhsa_system_sgpr_private_segment_wavefront_offset 0
		.amdhsa_system_sgpr_workgroup_id_x 1
		.amdhsa_system_sgpr_workgroup_id_y 0
		.amdhsa_system_sgpr_workgroup_id_z 0
		.amdhsa_system_sgpr_workgroup_info 0
		.amdhsa_system_vgpr_workitem_id 0
		.amdhsa_next_free_vgpr 17
		.amdhsa_next_free_sgpr 34
		.amdhsa_accum_offset 20
		.amdhsa_reserve_vcc 1
		.amdhsa_reserve_flat_scratch 0
		.amdhsa_float_round_mode_32 0
		.amdhsa_float_round_mode_16_64 0
		.amdhsa_float_denorm_mode_32 3
		.amdhsa_float_denorm_mode_16_64 3
		.amdhsa_dx10_clamp 1
		.amdhsa_ieee_mode 1
		.amdhsa_fp16_overflow 0
		.amdhsa_tg_split 0
		.amdhsa_exception_fp_ieee_invalid_op 0
		.amdhsa_exception_fp_denorm_src 0
		.amdhsa_exception_fp_ieee_div_zero 0
		.amdhsa_exception_fp_ieee_overflow 0
		.amdhsa_exception_fp_ieee_underflow 0
		.amdhsa_exception_fp_ieee_inexact 0
		.amdhsa_exception_int_div_zero 0
	.end_amdhsa_kernel
	.section	.text._ZN9rocsolver6v33100L16rf_gather_kernelIfEEviiPKiPT_iS5_,"axG",@progbits,_ZN9rocsolver6v33100L16rf_gather_kernelIfEEviiPKiPT_iS5_,comdat
.Lfunc_end0:
	.size	_ZN9rocsolver6v33100L16rf_gather_kernelIfEEviiPKiPT_iS5_, .Lfunc_end0-_ZN9rocsolver6v33100L16rf_gather_kernelIfEEviiPKiPT_iS5_
                                        ; -- End function
	.section	.AMDGPU.csdata,"",@progbits
; Kernel info:
; codeLenInByte = 688
; NumSgprs: 38
; NumVgprs: 17
; NumAgprs: 0
; TotalNumVgprs: 17
; ScratchSize: 0
; MemoryBound: 0
; FloatMode: 240
; IeeeMode: 1
; LDSByteSize: 0 bytes/workgroup (compile time only)
; SGPRBlocks: 4
; VGPRBlocks: 2
; NumSGPRsForWavesPerEU: 38
; NumVGPRsForWavesPerEU: 17
; AccumOffset: 20
; Occupancy: 8
; WaveLimiterHint : 0
; COMPUTE_PGM_RSRC2:SCRATCH_EN: 0
; COMPUTE_PGM_RSRC2:USER_SGPR: 6
; COMPUTE_PGM_RSRC2:TRAP_HANDLER: 0
; COMPUTE_PGM_RSRC2:TGID_X_EN: 1
; COMPUTE_PGM_RSRC2:TGID_Y_EN: 0
; COMPUTE_PGM_RSRC2:TGID_Z_EN: 0
; COMPUTE_PGM_RSRC2:TIDIG_COMP_CNT: 0
; COMPUTE_PGM_RSRC3_GFX90A:ACCUM_OFFSET: 4
; COMPUTE_PGM_RSRC3_GFX90A:TG_SPLIT: 0
	.section	.text._ZN9rocsolver6v33100L17rf_scatter_kernelIfEEviiPKiPT_iS5_,"axG",@progbits,_ZN9rocsolver6v33100L17rf_scatter_kernelIfEEviiPKiPT_iS5_,comdat
	.globl	_ZN9rocsolver6v33100L17rf_scatter_kernelIfEEviiPKiPT_iS5_ ; -- Begin function _ZN9rocsolver6v33100L17rf_scatter_kernelIfEEviiPKiPT_iS5_
	.p2align	8
	.type	_ZN9rocsolver6v33100L17rf_scatter_kernelIfEEviiPKiPT_iS5_,@function
_ZN9rocsolver6v33100L17rf_scatter_kernelIfEEviiPKiPT_iS5_: ; @_ZN9rocsolver6v33100L17rf_scatter_kernelIfEEviiPKiPT_iS5_
; %bb.0:
	s_load_dwordx2 s[16:17], s[4:5], 0x0
	s_load_dwordx4 s[8:11], s[4:5], 0x8
	s_load_dword s14, s[4:5], 0x18
	s_load_dwordx2 s[12:13], s[4:5], 0x20
	v_mov_b32_e32 v3, 0
	v_mov_b32_e32 v1, v3
	s_waitcnt lgkmcnt(0)
	s_ashr_i32 s7, s16, 31
	s_mov_b32 s6, s16
	v_cmp_gt_u32_e32 vcc, s16, v0
	s_and_saveexec_b64 s[18:19], vcc
	s_cbranch_execz .LBB1_6
; %bb.1:
	s_load_dword s0, s[4:5], 0x34
	s_ashr_i32 s21, s17, 31
	s_cmp_eq_u32 s17, 0
	v_lshlrev_b32_e32 v2, 2, v0
	s_mov_b32 s2, 0
	s_cselect_b64 s[22:23], -1, 0
	s_ashr_i32 s15, s14, 31
	s_waitcnt lgkmcnt(0)
	s_and_b32 s16, s0, 0xffff
	v_mov_b32_e32 v5, s11
	v_add_co_u32_e64 v4, s[0:1], s10, v2
	s_mov_b32 s20, s17
	s_lshl_b64 s[24:25], s[6:7], 2
	v_addc_co_u32_e64 v5, s[0:1], 0, v5, s[0:1]
	s_lshl_b32 s33, s16, 2
	s_lshl_b64 s[26:27], s[14:15], 2
	s_mov_b64 s[28:29], 0
	v_mov_b32_e32 v12, s9
	v_mov_b32_e32 v13, s2
	;; [unrolled: 1-line block ×3, first 2 shown]
	v_pk_mov_b32 v[6:7], v[0:1], v[0:1] op_sel:[0,1]
	s_branch .LBB1_3
.LBB1_2:                                ;   in Loop: Header=BB1_3 Depth=1
	s_or_b64 exec, exec, s[2:3]
	v_add_co_u32_e64 v6, s[0:1], s16, v6
	v_addc_co_u32_e64 v7, s[0:1], v7, v13, s[0:1]
	v_cmp_le_u64_e64 s[0:1], s[6:7], v[6:7]
	s_or_b64 s[28:29], s[0:1], s[28:29]
	v_add_co_u32_e64 v4, s[0:1], s33, v4
	v_addc_co_u32_e64 v5, s[0:1], v5, v14, s[0:1]
	s_andn2_b64 exec, exec, s[28:29]
	s_cbranch_execz .LBB1_6
.LBB1_3:                                ; =>This Loop Header: Depth=1
                                        ;     Child Loop BB1_5 Depth 2
	v_lshlrev_b64 v[8:9], 2, v[6:7]
	v_add_co_u32_e64 v8, s[0:1], s8, v8
	v_addc_co_u32_e64 v9, s[0:1], v12, v9, s[0:1]
	global_load_dword v2, v[8:9], off
	s_waitcnt vmcnt(0)
	v_cmp_gt_i32_e64 s[0:1], 0, v2
	v_cmp_le_i32_e64 s[2:3], s6, v2
	s_or_b64 s[0:1], s[0:1], s[2:3]
	s_or_b64 s[0:1], s[0:1], s[22:23]
	s_xor_b64 s[0:1], s[0:1], -1
	s_and_saveexec_b64 s[2:3], s[0:1]
	s_cbranch_execz .LBB1_2
; %bb.4:                                ;   in Loop: Header=BB1_3 Depth=1
	v_lshlrev_b64 v[8:9], 2, v[2:3]
	v_mov_b32_e32 v2, s13
	v_add_co_u32_e64 v8, s[0:1], s12, v8
	v_addc_co_u32_e64 v9, s[0:1], v2, v9, s[0:1]
	v_pk_mov_b32 v[10:11], v[4:5], v[4:5] op_sel:[0,1]
	s_mov_b64 s[30:31], s[20:21]
.LBB1_5:                                ;   Parent Loop BB1_3 Depth=1
                                        ; =>  This Inner Loop Header: Depth=2
	global_load_dword v2, v[10:11], off
	v_mov_b32_e32 v16, s27
	v_add_co_u32_e64 v10, s[0:1], s26, v10
	s_add_u32 s30, s30, -1
	v_addc_co_u32_e64 v11, s[0:1], v11, v16, s[0:1]
	v_mov_b32_e32 v15, s25
	s_addc_u32 s31, s31, -1
	s_cmp_lg_u64 s[30:31], 0
	s_waitcnt vmcnt(0)
	global_store_dword v[8:9], v2, off
	v_add_co_u32_e64 v8, s[0:1], s24, v8
	v_addc_co_u32_e64 v9, s[0:1], v9, v15, s[0:1]
	s_cbranch_scc1 .LBB1_5
	s_branch .LBB1_2
.LBB1_6:
	s_or_b64 exec, exec, s[18:19]
	s_barrier
	s_and_saveexec_b64 s[0:1], vcc
	s_cbranch_execz .LBB1_11
; %bb.7:
	s_load_dword s4, s[4:5], 0x34
	s_ashr_i32 s3, s17, 31
	v_lshlrev_b32_e32 v4, 2, v0
	s_cmp_lg_u32 s17, 0
	v_mov_b32_e32 v3, s11
	v_add_co_u32_e32 v2, vcc, s10, v4
	s_cselect_b64 s[0:1], -1, 0
	v_addc_co_u32_e32 v3, vcc, 0, v3, vcc
	s_mov_b32 s18, 0
	s_ashr_i32 s15, s14, 31
	s_waitcnt lgkmcnt(0)
	s_and_b32 s16, s4, 0xffff
	v_mov_b32_e32 v5, s13
	v_add_co_u32_e32 v4, vcc, s12, v4
	v_cndmask_b32_e64 v6, 0, 1, s[0:1]
	s_mov_b32 s2, s17
	s_lshl_b32 s17, s16, 2
	s_lshl_b64 s[4:5], s[14:15], 2
	v_addc_co_u32_e32 v5, vcc, 0, v5, vcc
	s_lshl_b64 s[8:9], s[6:7], 2
	s_mov_b64 s[10:11], 0
	v_cmp_ne_u32_e64 s[0:1], 1, v6
	v_mov_b32_e32 v10, s18
	v_mov_b32_e32 v11, s18
	s_branch .LBB1_9
.LBB1_8:                                ;   in Loop: Header=BB1_9 Depth=1
	v_add_co_u32_e32 v0, vcc, s16, v0
	v_addc_co_u32_e32 v1, vcc, v1, v10, vcc
	v_add_co_u32_e32 v2, vcc, s17, v2
	v_addc_co_u32_e32 v3, vcc, v3, v11, vcc
	v_cmp_le_u64_e32 vcc, s[6:7], v[0:1]
	s_or_b64 s[10:11], vcc, s[10:11]
	v_add_co_u32_e32 v4, vcc, s17, v4
	v_addc_co_u32_e32 v5, vcc, v5, v11, vcc
	s_andn2_b64 exec, exec, s[10:11]
	s_cbranch_execz .LBB1_11
.LBB1_9:                                ; =>This Loop Header: Depth=1
                                        ;     Child Loop BB1_10 Depth 2
	s_and_b64 vcc, exec, s[0:1]
	v_pk_mov_b32 v[6:7], v[4:5], v[4:5] op_sel:[0,1]
	v_pk_mov_b32 v[8:9], v[2:3], v[2:3] op_sel:[0,1]
	s_mov_b64 s[12:13], s[2:3]
	s_cbranch_vccnz .LBB1_8
.LBB1_10:                               ;   Parent Loop BB1_9 Depth=1
                                        ; =>  This Inner Loop Header: Depth=2
	global_load_dword v12, v[6:7], off
	v_mov_b32_e32 v14, s9
	v_add_co_u32_e32 v6, vcc, s8, v6
	s_add_u32 s12, s12, -1
	v_addc_co_u32_e32 v7, vcc, v7, v14, vcc
	v_mov_b32_e32 v13, s5
	s_addc_u32 s13, s13, -1
	s_cmp_eq_u64 s[12:13], 0
	s_waitcnt vmcnt(0)
	global_store_dword v[8:9], v12, off
	v_add_co_u32_e32 v8, vcc, s4, v8
	v_addc_co_u32_e32 v9, vcc, v9, v13, vcc
	s_cbranch_scc0 .LBB1_10
	s_branch .LBB1_8
.LBB1_11:
	s_endpgm
	.section	.rodata,"a",@progbits
	.p2align	6, 0x0
	.amdhsa_kernel _ZN9rocsolver6v33100L17rf_scatter_kernelIfEEviiPKiPT_iS5_
		.amdhsa_group_segment_fixed_size 0
		.amdhsa_private_segment_fixed_size 0
		.amdhsa_kernarg_size 296
		.amdhsa_user_sgpr_count 6
		.amdhsa_user_sgpr_private_segment_buffer 1
		.amdhsa_user_sgpr_dispatch_ptr 0
		.amdhsa_user_sgpr_queue_ptr 0
		.amdhsa_user_sgpr_kernarg_segment_ptr 1
		.amdhsa_user_sgpr_dispatch_id 0
		.amdhsa_user_sgpr_flat_scratch_init 0
		.amdhsa_user_sgpr_kernarg_preload_length 0
		.amdhsa_user_sgpr_kernarg_preload_offset 0
		.amdhsa_user_sgpr_private_segment_size 0
		.amdhsa_uses_dynamic_stack 0
		.amdhsa_system_sgpr_private_segment_wavefront_offset 0
		.amdhsa_system_sgpr_workgroup_id_x 1
		.amdhsa_system_sgpr_workgroup_id_y 0
		.amdhsa_system_sgpr_workgroup_id_z 0
		.amdhsa_system_sgpr_workgroup_info 0
		.amdhsa_system_vgpr_workitem_id 0
		.amdhsa_next_free_vgpr 17
		.amdhsa_next_free_sgpr 34
		.amdhsa_accum_offset 20
		.amdhsa_reserve_vcc 1
		.amdhsa_reserve_flat_scratch 0
		.amdhsa_float_round_mode_32 0
		.amdhsa_float_round_mode_16_64 0
		.amdhsa_float_denorm_mode_32 3
		.amdhsa_float_denorm_mode_16_64 3
		.amdhsa_dx10_clamp 1
		.amdhsa_ieee_mode 1
		.amdhsa_fp16_overflow 0
		.amdhsa_tg_split 0
		.amdhsa_exception_fp_ieee_invalid_op 0
		.amdhsa_exception_fp_denorm_src 0
		.amdhsa_exception_fp_ieee_div_zero 0
		.amdhsa_exception_fp_ieee_overflow 0
		.amdhsa_exception_fp_ieee_underflow 0
		.amdhsa_exception_fp_ieee_inexact 0
		.amdhsa_exception_int_div_zero 0
	.end_amdhsa_kernel
	.section	.text._ZN9rocsolver6v33100L17rf_scatter_kernelIfEEviiPKiPT_iS5_,"axG",@progbits,_ZN9rocsolver6v33100L17rf_scatter_kernelIfEEviiPKiPT_iS5_,comdat
.Lfunc_end1:
	.size	_ZN9rocsolver6v33100L17rf_scatter_kernelIfEEviiPKiPT_iS5_, .Lfunc_end1-_ZN9rocsolver6v33100L17rf_scatter_kernelIfEEviiPKiPT_iS5_
                                        ; -- End function
	.section	.AMDGPU.csdata,"",@progbits
; Kernel info:
; codeLenInByte = 688
; NumSgprs: 38
; NumVgprs: 17
; NumAgprs: 0
; TotalNumVgprs: 17
; ScratchSize: 0
; MemoryBound: 0
; FloatMode: 240
; IeeeMode: 1
; LDSByteSize: 0 bytes/workgroup (compile time only)
; SGPRBlocks: 4
; VGPRBlocks: 2
; NumSGPRsForWavesPerEU: 38
; NumVGPRsForWavesPerEU: 17
; AccumOffset: 20
; Occupancy: 8
; WaveLimiterHint : 0
; COMPUTE_PGM_RSRC2:SCRATCH_EN: 0
; COMPUTE_PGM_RSRC2:USER_SGPR: 6
; COMPUTE_PGM_RSRC2:TRAP_HANDLER: 0
; COMPUTE_PGM_RSRC2:TGID_X_EN: 1
; COMPUTE_PGM_RSRC2:TGID_Y_EN: 0
; COMPUTE_PGM_RSRC2:TGID_Z_EN: 0
; COMPUTE_PGM_RSRC2:TIDIG_COMP_CNT: 0
; COMPUTE_PGM_RSRC3_GFX90A:ACCUM_OFFSET: 4
; COMPUTE_PGM_RSRC3_GFX90A:TG_SPLIT: 0
	.section	.text._ZN9rocsolver6v33100L16rf_gather_kernelIdEEviiPKiPT_iS5_,"axG",@progbits,_ZN9rocsolver6v33100L16rf_gather_kernelIdEEviiPKiPT_iS5_,comdat
	.globl	_ZN9rocsolver6v33100L16rf_gather_kernelIdEEviiPKiPT_iS5_ ; -- Begin function _ZN9rocsolver6v33100L16rf_gather_kernelIdEEviiPKiPT_iS5_
	.p2align	8
	.type	_ZN9rocsolver6v33100L16rf_gather_kernelIdEEviiPKiPT_iS5_,@function
_ZN9rocsolver6v33100L16rf_gather_kernelIdEEviiPKiPT_iS5_: ; @_ZN9rocsolver6v33100L16rf_gather_kernelIdEEviiPKiPT_iS5_
; %bb.0:
	s_load_dwordx2 s[16:17], s[4:5], 0x0
	s_load_dwordx4 s[8:11], s[4:5], 0x8
	s_load_dword s14, s[4:5], 0x18
	s_load_dwordx2 s[12:13], s[4:5], 0x20
	v_mov_b32_e32 v3, 0
	v_mov_b32_e32 v1, v3
	s_waitcnt lgkmcnt(0)
	s_ashr_i32 s7, s16, 31
	s_mov_b32 s6, s16
	v_cmp_gt_u32_e32 vcc, s16, v0
	s_and_saveexec_b64 s[18:19], vcc
	s_cbranch_execz .LBB2_6
; %bb.1:
	s_load_dword s0, s[4:5], 0x34
	s_ashr_i32 s21, s17, 31
	s_cmp_eq_u32 s17, 0
	v_lshlrev_b32_e32 v2, 3, v0
	s_mov_b32 s2, 0
	s_cselect_b64 s[22:23], -1, 0
	s_ashr_i32 s15, s14, 31
	s_waitcnt lgkmcnt(0)
	s_and_b32 s16, s0, 0xffff
	v_mov_b32_e32 v5, s13
	v_add_co_u32_e64 v4, s[0:1], s12, v2
	s_mov_b32 s20, s17
	v_addc_co_u32_e64 v5, s[0:1], 0, v5, s[0:1]
	s_lshl_b32 s33, s16, 3
	s_lshl_b64 s[24:25], s[6:7], 3
	s_lshl_b64 s[26:27], s[14:15], 3
	s_mov_b64 s[28:29], 0
	v_mov_b32_e32 v12, s9
	v_mov_b32_e32 v13, s2
	;; [unrolled: 1-line block ×3, first 2 shown]
	v_pk_mov_b32 v[6:7], v[0:1], v[0:1] op_sel:[0,1]
	s_branch .LBB2_3
.LBB2_2:                                ;   in Loop: Header=BB2_3 Depth=1
	s_or_b64 exec, exec, s[2:3]
	v_add_co_u32_e64 v6, s[0:1], s16, v6
	v_addc_co_u32_e64 v7, s[0:1], v7, v13, s[0:1]
	v_cmp_le_u64_e64 s[0:1], s[6:7], v[6:7]
	s_or_b64 s[28:29], s[0:1], s[28:29]
	v_add_co_u32_e64 v4, s[0:1], s33, v4
	v_addc_co_u32_e64 v5, s[0:1], v5, v14, s[0:1]
	s_andn2_b64 exec, exec, s[28:29]
	s_cbranch_execz .LBB2_6
.LBB2_3:                                ; =>This Loop Header: Depth=1
                                        ;     Child Loop BB2_5 Depth 2
	v_lshlrev_b64 v[8:9], 2, v[6:7]
	v_add_co_u32_e64 v8, s[0:1], s8, v8
	v_addc_co_u32_e64 v9, s[0:1], v12, v9, s[0:1]
	global_load_dword v2, v[8:9], off
	s_waitcnt vmcnt(0)
	v_cmp_gt_i32_e64 s[0:1], 0, v2
	v_cmp_le_i32_e64 s[2:3], s6, v2
	s_or_b64 s[0:1], s[0:1], s[2:3]
	s_or_b64 s[0:1], s[0:1], s[22:23]
	s_xor_b64 s[0:1], s[0:1], -1
	s_and_saveexec_b64 s[2:3], s[0:1]
	s_cbranch_execz .LBB2_2
; %bb.4:                                ;   in Loop: Header=BB2_3 Depth=1
	v_lshlrev_b64 v[8:9], 3, v[2:3]
	v_mov_b32_e32 v2, s11
	v_add_co_u32_e64 v8, s[0:1], s10, v8
	v_addc_co_u32_e64 v9, s[0:1], v2, v9, s[0:1]
	v_pk_mov_b32 v[10:11], v[4:5], v[4:5] op_sel:[0,1]
	s_mov_b64 s[30:31], s[20:21]
.LBB2_5:                                ;   Parent Loop BB2_3 Depth=1
                                        ; =>  This Inner Loop Header: Depth=2
	global_load_dwordx2 v[16:17], v[8:9], off
	v_mov_b32_e32 v15, s27
	v_add_co_u32_e64 v8, s[0:1], s26, v8
	s_add_u32 s30, s30, -1
	v_addc_co_u32_e64 v9, s[0:1], v9, v15, s[0:1]
	v_mov_b32_e32 v2, s25
	s_addc_u32 s31, s31, -1
	s_cmp_lg_u64 s[30:31], 0
	s_waitcnt vmcnt(0)
	global_store_dwordx2 v[10:11], v[16:17], off
	v_add_co_u32_e64 v10, s[0:1], s24, v10
	v_addc_co_u32_e64 v11, s[0:1], v11, v2, s[0:1]
	s_cbranch_scc1 .LBB2_5
	s_branch .LBB2_2
.LBB2_6:
	s_or_b64 exec, exec, s[18:19]
	s_barrier
	s_and_saveexec_b64 s[0:1], vcc
	s_cbranch_execz .LBB2_11
; %bb.7:
	s_load_dword s4, s[4:5], 0x34
	s_ashr_i32 s3, s17, 31
	v_lshlrev_b32_e32 v4, 3, v0
	s_cmp_lg_u32 s17, 0
	v_mov_b32_e32 v3, s11
	v_add_co_u32_e32 v2, vcc, s10, v4
	s_cselect_b64 s[0:1], -1, 0
	v_addc_co_u32_e32 v3, vcc, 0, v3, vcc
	s_mov_b32 s18, 0
	s_ashr_i32 s15, s14, 31
	s_waitcnt lgkmcnt(0)
	s_and_b32 s16, s4, 0xffff
	v_mov_b32_e32 v5, s13
	v_add_co_u32_e32 v4, vcc, s12, v4
	v_cndmask_b32_e64 v6, 0, 1, s[0:1]
	s_mov_b32 s2, s17
	s_lshl_b32 s17, s16, 3
	s_lshl_b64 s[4:5], s[14:15], 3
	v_addc_co_u32_e32 v5, vcc, 0, v5, vcc
	s_lshl_b64 s[8:9], s[6:7], 3
	s_mov_b64 s[10:11], 0
	v_cmp_ne_u32_e64 s[0:1], 1, v6
	v_mov_b32_e32 v10, s18
	v_mov_b32_e32 v11, s18
	s_branch .LBB2_9
.LBB2_8:                                ;   in Loop: Header=BB2_9 Depth=1
	v_add_co_u32_e32 v0, vcc, s16, v0
	v_addc_co_u32_e32 v1, vcc, v1, v10, vcc
	v_add_co_u32_e32 v2, vcc, s17, v2
	v_addc_co_u32_e32 v3, vcc, v3, v11, vcc
	v_cmp_le_u64_e32 vcc, s[6:7], v[0:1]
	s_or_b64 s[10:11], vcc, s[10:11]
	v_add_co_u32_e32 v4, vcc, s17, v4
	v_addc_co_u32_e32 v5, vcc, v5, v11, vcc
	s_andn2_b64 exec, exec, s[10:11]
	s_cbranch_execz .LBB2_11
.LBB2_9:                                ; =>This Loop Header: Depth=1
                                        ;     Child Loop BB2_10 Depth 2
	s_and_b64 vcc, exec, s[0:1]
	v_pk_mov_b32 v[6:7], v[4:5], v[4:5] op_sel:[0,1]
	v_pk_mov_b32 v[8:9], v[2:3], v[2:3] op_sel:[0,1]
	s_mov_b64 s[12:13], s[2:3]
	s_cbranch_vccnz .LBB2_8
.LBB2_10:                               ;   Parent Loop BB2_9 Depth=1
                                        ; =>  This Inner Loop Header: Depth=2
	global_load_dwordx2 v[12:13], v[6:7], off
	v_mov_b32_e32 v15, s9
	v_add_co_u32_e32 v6, vcc, s8, v6
	s_add_u32 s12, s12, -1
	v_addc_co_u32_e32 v7, vcc, v7, v15, vcc
	v_mov_b32_e32 v14, s5
	s_addc_u32 s13, s13, -1
	s_cmp_eq_u64 s[12:13], 0
	s_waitcnt vmcnt(0)
	global_store_dwordx2 v[8:9], v[12:13], off
	v_add_co_u32_e32 v8, vcc, s4, v8
	v_addc_co_u32_e32 v9, vcc, v9, v14, vcc
	s_cbranch_scc0 .LBB2_10
	s_branch .LBB2_8
.LBB2_11:
	s_endpgm
	.section	.rodata,"a",@progbits
	.p2align	6, 0x0
	.amdhsa_kernel _ZN9rocsolver6v33100L16rf_gather_kernelIdEEviiPKiPT_iS5_
		.amdhsa_group_segment_fixed_size 0
		.amdhsa_private_segment_fixed_size 0
		.amdhsa_kernarg_size 296
		.amdhsa_user_sgpr_count 6
		.amdhsa_user_sgpr_private_segment_buffer 1
		.amdhsa_user_sgpr_dispatch_ptr 0
		.amdhsa_user_sgpr_queue_ptr 0
		.amdhsa_user_sgpr_kernarg_segment_ptr 1
		.amdhsa_user_sgpr_dispatch_id 0
		.amdhsa_user_sgpr_flat_scratch_init 0
		.amdhsa_user_sgpr_kernarg_preload_length 0
		.amdhsa_user_sgpr_kernarg_preload_offset 0
		.amdhsa_user_sgpr_private_segment_size 0
		.amdhsa_uses_dynamic_stack 0
		.amdhsa_system_sgpr_private_segment_wavefront_offset 0
		.amdhsa_system_sgpr_workgroup_id_x 1
		.amdhsa_system_sgpr_workgroup_id_y 0
		.amdhsa_system_sgpr_workgroup_id_z 0
		.amdhsa_system_sgpr_workgroup_info 0
		.amdhsa_system_vgpr_workitem_id 0
		.amdhsa_next_free_vgpr 18
		.amdhsa_next_free_sgpr 34
		.amdhsa_accum_offset 20
		.amdhsa_reserve_vcc 1
		.amdhsa_reserve_flat_scratch 0
		.amdhsa_float_round_mode_32 0
		.amdhsa_float_round_mode_16_64 0
		.amdhsa_float_denorm_mode_32 3
		.amdhsa_float_denorm_mode_16_64 3
		.amdhsa_dx10_clamp 1
		.amdhsa_ieee_mode 1
		.amdhsa_fp16_overflow 0
		.amdhsa_tg_split 0
		.amdhsa_exception_fp_ieee_invalid_op 0
		.amdhsa_exception_fp_denorm_src 0
		.amdhsa_exception_fp_ieee_div_zero 0
		.amdhsa_exception_fp_ieee_overflow 0
		.amdhsa_exception_fp_ieee_underflow 0
		.amdhsa_exception_fp_ieee_inexact 0
		.amdhsa_exception_int_div_zero 0
	.end_amdhsa_kernel
	.section	.text._ZN9rocsolver6v33100L16rf_gather_kernelIdEEviiPKiPT_iS5_,"axG",@progbits,_ZN9rocsolver6v33100L16rf_gather_kernelIdEEviiPKiPT_iS5_,comdat
.Lfunc_end2:
	.size	_ZN9rocsolver6v33100L16rf_gather_kernelIdEEviiPKiPT_iS5_, .Lfunc_end2-_ZN9rocsolver6v33100L16rf_gather_kernelIdEEviiPKiPT_iS5_
                                        ; -- End function
	.section	.AMDGPU.csdata,"",@progbits
; Kernel info:
; codeLenInByte = 688
; NumSgprs: 38
; NumVgprs: 18
; NumAgprs: 0
; TotalNumVgprs: 18
; ScratchSize: 0
; MemoryBound: 0
; FloatMode: 240
; IeeeMode: 1
; LDSByteSize: 0 bytes/workgroup (compile time only)
; SGPRBlocks: 4
; VGPRBlocks: 2
; NumSGPRsForWavesPerEU: 38
; NumVGPRsForWavesPerEU: 18
; AccumOffset: 20
; Occupancy: 8
; WaveLimiterHint : 0
; COMPUTE_PGM_RSRC2:SCRATCH_EN: 0
; COMPUTE_PGM_RSRC2:USER_SGPR: 6
; COMPUTE_PGM_RSRC2:TRAP_HANDLER: 0
; COMPUTE_PGM_RSRC2:TGID_X_EN: 1
; COMPUTE_PGM_RSRC2:TGID_Y_EN: 0
; COMPUTE_PGM_RSRC2:TGID_Z_EN: 0
; COMPUTE_PGM_RSRC2:TIDIG_COMP_CNT: 0
; COMPUTE_PGM_RSRC3_GFX90A:ACCUM_OFFSET: 4
; COMPUTE_PGM_RSRC3_GFX90A:TG_SPLIT: 0
	.section	.text._ZN9rocsolver6v33100L17rf_scatter_kernelIdEEviiPKiPT_iS5_,"axG",@progbits,_ZN9rocsolver6v33100L17rf_scatter_kernelIdEEviiPKiPT_iS5_,comdat
	.globl	_ZN9rocsolver6v33100L17rf_scatter_kernelIdEEviiPKiPT_iS5_ ; -- Begin function _ZN9rocsolver6v33100L17rf_scatter_kernelIdEEviiPKiPT_iS5_
	.p2align	8
	.type	_ZN9rocsolver6v33100L17rf_scatter_kernelIdEEviiPKiPT_iS5_,@function
_ZN9rocsolver6v33100L17rf_scatter_kernelIdEEviiPKiPT_iS5_: ; @_ZN9rocsolver6v33100L17rf_scatter_kernelIdEEviiPKiPT_iS5_
; %bb.0:
	s_load_dwordx2 s[16:17], s[4:5], 0x0
	s_load_dwordx4 s[8:11], s[4:5], 0x8
	s_load_dword s14, s[4:5], 0x18
	s_load_dwordx2 s[12:13], s[4:5], 0x20
	v_mov_b32_e32 v3, 0
	v_mov_b32_e32 v1, v3
	s_waitcnt lgkmcnt(0)
	s_ashr_i32 s7, s16, 31
	s_mov_b32 s6, s16
	v_cmp_gt_u32_e32 vcc, s16, v0
	s_and_saveexec_b64 s[18:19], vcc
	s_cbranch_execz .LBB3_6
; %bb.1:
	s_load_dword s0, s[4:5], 0x34
	s_ashr_i32 s21, s17, 31
	s_cmp_eq_u32 s17, 0
	v_lshlrev_b32_e32 v2, 3, v0
	s_mov_b32 s2, 0
	s_cselect_b64 s[22:23], -1, 0
	s_ashr_i32 s15, s14, 31
	s_waitcnt lgkmcnt(0)
	s_and_b32 s16, s0, 0xffff
	v_mov_b32_e32 v5, s11
	v_add_co_u32_e64 v4, s[0:1], s10, v2
	s_mov_b32 s20, s17
	s_lshl_b64 s[24:25], s[6:7], 3
	v_addc_co_u32_e64 v5, s[0:1], 0, v5, s[0:1]
	s_lshl_b32 s33, s16, 3
	s_lshl_b64 s[26:27], s[14:15], 3
	s_mov_b64 s[28:29], 0
	v_mov_b32_e32 v12, s9
	v_mov_b32_e32 v13, s2
	;; [unrolled: 1-line block ×3, first 2 shown]
	v_pk_mov_b32 v[6:7], v[0:1], v[0:1] op_sel:[0,1]
	s_branch .LBB3_3
.LBB3_2:                                ;   in Loop: Header=BB3_3 Depth=1
	s_or_b64 exec, exec, s[2:3]
	v_add_co_u32_e64 v6, s[0:1], s16, v6
	v_addc_co_u32_e64 v7, s[0:1], v7, v13, s[0:1]
	v_cmp_le_u64_e64 s[0:1], s[6:7], v[6:7]
	s_or_b64 s[28:29], s[0:1], s[28:29]
	v_add_co_u32_e64 v4, s[0:1], s33, v4
	v_addc_co_u32_e64 v5, s[0:1], v5, v14, s[0:1]
	s_andn2_b64 exec, exec, s[28:29]
	s_cbranch_execz .LBB3_6
.LBB3_3:                                ; =>This Loop Header: Depth=1
                                        ;     Child Loop BB3_5 Depth 2
	v_lshlrev_b64 v[8:9], 2, v[6:7]
	v_add_co_u32_e64 v8, s[0:1], s8, v8
	v_addc_co_u32_e64 v9, s[0:1], v12, v9, s[0:1]
	global_load_dword v2, v[8:9], off
	s_waitcnt vmcnt(0)
	v_cmp_gt_i32_e64 s[0:1], 0, v2
	v_cmp_le_i32_e64 s[2:3], s6, v2
	s_or_b64 s[0:1], s[0:1], s[2:3]
	s_or_b64 s[0:1], s[0:1], s[22:23]
	s_xor_b64 s[0:1], s[0:1], -1
	s_and_saveexec_b64 s[2:3], s[0:1]
	s_cbranch_execz .LBB3_2
; %bb.4:                                ;   in Loop: Header=BB3_3 Depth=1
	v_lshlrev_b64 v[8:9], 3, v[2:3]
	v_mov_b32_e32 v2, s13
	v_add_co_u32_e64 v8, s[0:1], s12, v8
	v_addc_co_u32_e64 v9, s[0:1], v2, v9, s[0:1]
	v_pk_mov_b32 v[10:11], v[4:5], v[4:5] op_sel:[0,1]
	s_mov_b64 s[30:31], s[20:21]
.LBB3_5:                                ;   Parent Loop BB3_3 Depth=1
                                        ; =>  This Inner Loop Header: Depth=2
	global_load_dwordx2 v[16:17], v[10:11], off
	v_mov_b32_e32 v15, s27
	v_add_co_u32_e64 v10, s[0:1], s26, v10
	s_add_u32 s30, s30, -1
	v_addc_co_u32_e64 v11, s[0:1], v11, v15, s[0:1]
	v_mov_b32_e32 v2, s25
	s_addc_u32 s31, s31, -1
	s_cmp_lg_u64 s[30:31], 0
	s_waitcnt vmcnt(0)
	global_store_dwordx2 v[8:9], v[16:17], off
	v_add_co_u32_e64 v8, s[0:1], s24, v8
	v_addc_co_u32_e64 v9, s[0:1], v9, v2, s[0:1]
	s_cbranch_scc1 .LBB3_5
	s_branch .LBB3_2
.LBB3_6:
	s_or_b64 exec, exec, s[18:19]
	s_barrier
	s_and_saveexec_b64 s[0:1], vcc
	s_cbranch_execz .LBB3_11
; %bb.7:
	s_load_dword s4, s[4:5], 0x34
	s_ashr_i32 s3, s17, 31
	v_lshlrev_b32_e32 v4, 3, v0
	s_cmp_lg_u32 s17, 0
	v_mov_b32_e32 v3, s11
	v_add_co_u32_e32 v2, vcc, s10, v4
	s_cselect_b64 s[0:1], -1, 0
	v_addc_co_u32_e32 v3, vcc, 0, v3, vcc
	s_mov_b32 s18, 0
	s_ashr_i32 s15, s14, 31
	s_waitcnt lgkmcnt(0)
	s_and_b32 s16, s4, 0xffff
	v_mov_b32_e32 v5, s13
	v_add_co_u32_e32 v4, vcc, s12, v4
	v_cndmask_b32_e64 v6, 0, 1, s[0:1]
	s_mov_b32 s2, s17
	s_lshl_b32 s17, s16, 3
	s_lshl_b64 s[4:5], s[14:15], 3
	v_addc_co_u32_e32 v5, vcc, 0, v5, vcc
	s_lshl_b64 s[8:9], s[6:7], 3
	s_mov_b64 s[10:11], 0
	v_cmp_ne_u32_e64 s[0:1], 1, v6
	v_mov_b32_e32 v10, s18
	v_mov_b32_e32 v11, s18
	s_branch .LBB3_9
.LBB3_8:                                ;   in Loop: Header=BB3_9 Depth=1
	v_add_co_u32_e32 v0, vcc, s16, v0
	v_addc_co_u32_e32 v1, vcc, v1, v10, vcc
	v_add_co_u32_e32 v2, vcc, s17, v2
	v_addc_co_u32_e32 v3, vcc, v3, v11, vcc
	v_cmp_le_u64_e32 vcc, s[6:7], v[0:1]
	s_or_b64 s[10:11], vcc, s[10:11]
	v_add_co_u32_e32 v4, vcc, s17, v4
	v_addc_co_u32_e32 v5, vcc, v5, v11, vcc
	s_andn2_b64 exec, exec, s[10:11]
	s_cbranch_execz .LBB3_11
.LBB3_9:                                ; =>This Loop Header: Depth=1
                                        ;     Child Loop BB3_10 Depth 2
	s_and_b64 vcc, exec, s[0:1]
	v_pk_mov_b32 v[6:7], v[4:5], v[4:5] op_sel:[0,1]
	v_pk_mov_b32 v[8:9], v[2:3], v[2:3] op_sel:[0,1]
	s_mov_b64 s[12:13], s[2:3]
	s_cbranch_vccnz .LBB3_8
.LBB3_10:                               ;   Parent Loop BB3_9 Depth=1
                                        ; =>  This Inner Loop Header: Depth=2
	global_load_dwordx2 v[12:13], v[6:7], off
	v_mov_b32_e32 v15, s9
	v_add_co_u32_e32 v6, vcc, s8, v6
	s_add_u32 s12, s12, -1
	v_addc_co_u32_e32 v7, vcc, v7, v15, vcc
	v_mov_b32_e32 v14, s5
	s_addc_u32 s13, s13, -1
	s_cmp_eq_u64 s[12:13], 0
	s_waitcnt vmcnt(0)
	global_store_dwordx2 v[8:9], v[12:13], off
	v_add_co_u32_e32 v8, vcc, s4, v8
	v_addc_co_u32_e32 v9, vcc, v9, v14, vcc
	s_cbranch_scc0 .LBB3_10
	s_branch .LBB3_8
.LBB3_11:
	s_endpgm
	.section	.rodata,"a",@progbits
	.p2align	6, 0x0
	.amdhsa_kernel _ZN9rocsolver6v33100L17rf_scatter_kernelIdEEviiPKiPT_iS5_
		.amdhsa_group_segment_fixed_size 0
		.amdhsa_private_segment_fixed_size 0
		.amdhsa_kernarg_size 296
		.amdhsa_user_sgpr_count 6
		.amdhsa_user_sgpr_private_segment_buffer 1
		.amdhsa_user_sgpr_dispatch_ptr 0
		.amdhsa_user_sgpr_queue_ptr 0
		.amdhsa_user_sgpr_kernarg_segment_ptr 1
		.amdhsa_user_sgpr_dispatch_id 0
		.amdhsa_user_sgpr_flat_scratch_init 0
		.amdhsa_user_sgpr_kernarg_preload_length 0
		.amdhsa_user_sgpr_kernarg_preload_offset 0
		.amdhsa_user_sgpr_private_segment_size 0
		.amdhsa_uses_dynamic_stack 0
		.amdhsa_system_sgpr_private_segment_wavefront_offset 0
		.amdhsa_system_sgpr_workgroup_id_x 1
		.amdhsa_system_sgpr_workgroup_id_y 0
		.amdhsa_system_sgpr_workgroup_id_z 0
		.amdhsa_system_sgpr_workgroup_info 0
		.amdhsa_system_vgpr_workitem_id 0
		.amdhsa_next_free_vgpr 18
		.amdhsa_next_free_sgpr 34
		.amdhsa_accum_offset 20
		.amdhsa_reserve_vcc 1
		.amdhsa_reserve_flat_scratch 0
		.amdhsa_float_round_mode_32 0
		.amdhsa_float_round_mode_16_64 0
		.amdhsa_float_denorm_mode_32 3
		.amdhsa_float_denorm_mode_16_64 3
		.amdhsa_dx10_clamp 1
		.amdhsa_ieee_mode 1
		.amdhsa_fp16_overflow 0
		.amdhsa_tg_split 0
		.amdhsa_exception_fp_ieee_invalid_op 0
		.amdhsa_exception_fp_denorm_src 0
		.amdhsa_exception_fp_ieee_div_zero 0
		.amdhsa_exception_fp_ieee_overflow 0
		.amdhsa_exception_fp_ieee_underflow 0
		.amdhsa_exception_fp_ieee_inexact 0
		.amdhsa_exception_int_div_zero 0
	.end_amdhsa_kernel
	.section	.text._ZN9rocsolver6v33100L17rf_scatter_kernelIdEEviiPKiPT_iS5_,"axG",@progbits,_ZN9rocsolver6v33100L17rf_scatter_kernelIdEEviiPKiPT_iS5_,comdat
.Lfunc_end3:
	.size	_ZN9rocsolver6v33100L17rf_scatter_kernelIdEEviiPKiPT_iS5_, .Lfunc_end3-_ZN9rocsolver6v33100L17rf_scatter_kernelIdEEviiPKiPT_iS5_
                                        ; -- End function
	.section	.AMDGPU.csdata,"",@progbits
; Kernel info:
; codeLenInByte = 688
; NumSgprs: 38
; NumVgprs: 18
; NumAgprs: 0
; TotalNumVgprs: 18
; ScratchSize: 0
; MemoryBound: 0
; FloatMode: 240
; IeeeMode: 1
; LDSByteSize: 0 bytes/workgroup (compile time only)
; SGPRBlocks: 4
; VGPRBlocks: 2
; NumSGPRsForWavesPerEU: 38
; NumVGPRsForWavesPerEU: 18
; AccumOffset: 20
; Occupancy: 8
; WaveLimiterHint : 0
; COMPUTE_PGM_RSRC2:SCRATCH_EN: 0
; COMPUTE_PGM_RSRC2:USER_SGPR: 6
; COMPUTE_PGM_RSRC2:TRAP_HANDLER: 0
; COMPUTE_PGM_RSRC2:TGID_X_EN: 1
; COMPUTE_PGM_RSRC2:TGID_Y_EN: 0
; COMPUTE_PGM_RSRC2:TGID_Z_EN: 0
; COMPUTE_PGM_RSRC2:TIDIG_COMP_CNT: 0
; COMPUTE_PGM_RSRC3_GFX90A:ACCUM_OFFSET: 4
; COMPUTE_PGM_RSRC3_GFX90A:TG_SPLIT: 0
	.text
	.p2alignl 6, 3212836864
	.fill 256, 4, 3212836864
	.type	__hip_cuid_9087627ae01ccc6a,@object ; @__hip_cuid_9087627ae01ccc6a
	.section	.bss,"aw",@nobits
	.globl	__hip_cuid_9087627ae01ccc6a
__hip_cuid_9087627ae01ccc6a:
	.byte	0                               ; 0x0
	.size	__hip_cuid_9087627ae01ccc6a, 1

	.ident	"AMD clang version 19.0.0git (https://github.com/RadeonOpenCompute/llvm-project roc-6.4.0 25133 c7fe45cf4b819c5991fe208aaa96edf142730f1d)"
	.section	".note.GNU-stack","",@progbits
	.addrsig
	.addrsig_sym __hip_cuid_9087627ae01ccc6a
	.amdgpu_metadata
---
amdhsa.kernels:
  - .agpr_count:     0
    .args:
      - .offset:         0
        .size:           4
        .value_kind:     by_value
      - .offset:         4
        .size:           4
        .value_kind:     by_value
      - .address_space:  global
        .offset:         8
        .size:           8
        .value_kind:     global_buffer
      - .address_space:  global
        .offset:         16
        .size:           8
        .value_kind:     global_buffer
      - .offset:         24
        .size:           4
        .value_kind:     by_value
      - .address_space:  global
        .offset:         32
        .size:           8
        .value_kind:     global_buffer
      - .offset:         40
        .size:           4
        .value_kind:     hidden_block_count_x
      - .offset:         44
        .size:           4
        .value_kind:     hidden_block_count_y
      - .offset:         48
        .size:           4
        .value_kind:     hidden_block_count_z
      - .offset:         52
        .size:           2
        .value_kind:     hidden_group_size_x
      - .offset:         54
        .size:           2
        .value_kind:     hidden_group_size_y
      - .offset:         56
        .size:           2
        .value_kind:     hidden_group_size_z
      - .offset:         58
        .size:           2
        .value_kind:     hidden_remainder_x
      - .offset:         60
        .size:           2
        .value_kind:     hidden_remainder_y
      - .offset:         62
        .size:           2
        .value_kind:     hidden_remainder_z
      - .offset:         80
        .size:           8
        .value_kind:     hidden_global_offset_x
      - .offset:         88
        .size:           8
        .value_kind:     hidden_global_offset_y
      - .offset:         96
        .size:           8
        .value_kind:     hidden_global_offset_z
      - .offset:         104
        .size:           2
        .value_kind:     hidden_grid_dims
    .group_segment_fixed_size: 0
    .kernarg_segment_align: 8
    .kernarg_segment_size: 296
    .language:       OpenCL C
    .language_version:
      - 2
      - 0
    .max_flat_workgroup_size: 1024
    .name:           _ZN9rocsolver6v33100L16rf_gather_kernelIfEEviiPKiPT_iS5_
    .private_segment_fixed_size: 0
    .sgpr_count:     38
    .sgpr_spill_count: 0
    .symbol:         _ZN9rocsolver6v33100L16rf_gather_kernelIfEEviiPKiPT_iS5_.kd
    .uniform_work_group_size: 1
    .uses_dynamic_stack: false
    .vgpr_count:     17
    .vgpr_spill_count: 0
    .wavefront_size: 64
  - .agpr_count:     0
    .args:
      - .offset:         0
        .size:           4
        .value_kind:     by_value
      - .offset:         4
        .size:           4
        .value_kind:     by_value
      - .address_space:  global
        .offset:         8
        .size:           8
        .value_kind:     global_buffer
      - .address_space:  global
        .offset:         16
        .size:           8
        .value_kind:     global_buffer
      - .offset:         24
        .size:           4
        .value_kind:     by_value
      - .address_space:  global
        .offset:         32
        .size:           8
        .value_kind:     global_buffer
      - .offset:         40
        .size:           4
        .value_kind:     hidden_block_count_x
      - .offset:         44
        .size:           4
        .value_kind:     hidden_block_count_y
      - .offset:         48
        .size:           4
        .value_kind:     hidden_block_count_z
      - .offset:         52
        .size:           2
        .value_kind:     hidden_group_size_x
      - .offset:         54
        .size:           2
        .value_kind:     hidden_group_size_y
      - .offset:         56
        .size:           2
        .value_kind:     hidden_group_size_z
      - .offset:         58
        .size:           2
        .value_kind:     hidden_remainder_x
      - .offset:         60
        .size:           2
        .value_kind:     hidden_remainder_y
      - .offset:         62
        .size:           2
        .value_kind:     hidden_remainder_z
      - .offset:         80
        .size:           8
        .value_kind:     hidden_global_offset_x
      - .offset:         88
        .size:           8
        .value_kind:     hidden_global_offset_y
      - .offset:         96
        .size:           8
        .value_kind:     hidden_global_offset_z
      - .offset:         104
        .size:           2
        .value_kind:     hidden_grid_dims
    .group_segment_fixed_size: 0
    .kernarg_segment_align: 8
    .kernarg_segment_size: 296
    .language:       OpenCL C
    .language_version:
      - 2
      - 0
    .max_flat_workgroup_size: 1024
    .name:           _ZN9rocsolver6v33100L17rf_scatter_kernelIfEEviiPKiPT_iS5_
    .private_segment_fixed_size: 0
    .sgpr_count:     38
    .sgpr_spill_count: 0
    .symbol:         _ZN9rocsolver6v33100L17rf_scatter_kernelIfEEviiPKiPT_iS5_.kd
    .uniform_work_group_size: 1
    .uses_dynamic_stack: false
    .vgpr_count:     17
    .vgpr_spill_count: 0
    .wavefront_size: 64
  - .agpr_count:     0
    .args:
      - .offset:         0
        .size:           4
        .value_kind:     by_value
      - .offset:         4
        .size:           4
        .value_kind:     by_value
      - .address_space:  global
        .offset:         8
        .size:           8
        .value_kind:     global_buffer
      - .address_space:  global
        .offset:         16
        .size:           8
        .value_kind:     global_buffer
      - .offset:         24
        .size:           4
        .value_kind:     by_value
      - .address_space:  global
        .offset:         32
        .size:           8
        .value_kind:     global_buffer
      - .offset:         40
        .size:           4
        .value_kind:     hidden_block_count_x
      - .offset:         44
        .size:           4
        .value_kind:     hidden_block_count_y
      - .offset:         48
        .size:           4
        .value_kind:     hidden_block_count_z
      - .offset:         52
        .size:           2
        .value_kind:     hidden_group_size_x
      - .offset:         54
        .size:           2
        .value_kind:     hidden_group_size_y
      - .offset:         56
        .size:           2
        .value_kind:     hidden_group_size_z
      - .offset:         58
        .size:           2
        .value_kind:     hidden_remainder_x
      - .offset:         60
        .size:           2
        .value_kind:     hidden_remainder_y
      - .offset:         62
        .size:           2
        .value_kind:     hidden_remainder_z
      - .offset:         80
        .size:           8
        .value_kind:     hidden_global_offset_x
      - .offset:         88
        .size:           8
        .value_kind:     hidden_global_offset_y
      - .offset:         96
        .size:           8
        .value_kind:     hidden_global_offset_z
      - .offset:         104
        .size:           2
        .value_kind:     hidden_grid_dims
    .group_segment_fixed_size: 0
    .kernarg_segment_align: 8
    .kernarg_segment_size: 296
    .language:       OpenCL C
    .language_version:
      - 2
      - 0
    .max_flat_workgroup_size: 1024
    .name:           _ZN9rocsolver6v33100L16rf_gather_kernelIdEEviiPKiPT_iS5_
    .private_segment_fixed_size: 0
    .sgpr_count:     38
    .sgpr_spill_count: 0
    .symbol:         _ZN9rocsolver6v33100L16rf_gather_kernelIdEEviiPKiPT_iS5_.kd
    .uniform_work_group_size: 1
    .uses_dynamic_stack: false
    .vgpr_count:     18
    .vgpr_spill_count: 0
    .wavefront_size: 64
  - .agpr_count:     0
    .args:
      - .offset:         0
        .size:           4
        .value_kind:     by_value
      - .offset:         4
        .size:           4
        .value_kind:     by_value
      - .address_space:  global
        .offset:         8
        .size:           8
        .value_kind:     global_buffer
      - .address_space:  global
        .offset:         16
        .size:           8
        .value_kind:     global_buffer
      - .offset:         24
        .size:           4
        .value_kind:     by_value
      - .address_space:  global
        .offset:         32
        .size:           8
        .value_kind:     global_buffer
      - .offset:         40
        .size:           4
        .value_kind:     hidden_block_count_x
      - .offset:         44
        .size:           4
        .value_kind:     hidden_block_count_y
      - .offset:         48
        .size:           4
        .value_kind:     hidden_block_count_z
      - .offset:         52
        .size:           2
        .value_kind:     hidden_group_size_x
      - .offset:         54
        .size:           2
        .value_kind:     hidden_group_size_y
      - .offset:         56
        .size:           2
        .value_kind:     hidden_group_size_z
      - .offset:         58
        .size:           2
        .value_kind:     hidden_remainder_x
      - .offset:         60
        .size:           2
        .value_kind:     hidden_remainder_y
      - .offset:         62
        .size:           2
        .value_kind:     hidden_remainder_z
      - .offset:         80
        .size:           8
        .value_kind:     hidden_global_offset_x
      - .offset:         88
        .size:           8
        .value_kind:     hidden_global_offset_y
      - .offset:         96
        .size:           8
        .value_kind:     hidden_global_offset_z
      - .offset:         104
        .size:           2
        .value_kind:     hidden_grid_dims
    .group_segment_fixed_size: 0
    .kernarg_segment_align: 8
    .kernarg_segment_size: 296
    .language:       OpenCL C
    .language_version:
      - 2
      - 0
    .max_flat_workgroup_size: 1024
    .name:           _ZN9rocsolver6v33100L17rf_scatter_kernelIdEEviiPKiPT_iS5_
    .private_segment_fixed_size: 0
    .sgpr_count:     38
    .sgpr_spill_count: 0
    .symbol:         _ZN9rocsolver6v33100L17rf_scatter_kernelIdEEviiPKiPT_iS5_.kd
    .uniform_work_group_size: 1
    .uses_dynamic_stack: false
    .vgpr_count:     18
    .vgpr_spill_count: 0
    .wavefront_size: 64
amdhsa.target:   amdgcn-amd-amdhsa--gfx90a
amdhsa.version:
  - 1
  - 2
...

	.end_amdgpu_metadata
